;; amdgpu-corpus repo=ROCm/rocFFT kind=compiled arch=gfx906 opt=O3
	.text
	.amdgcn_target "amdgcn-amd-amdhsa--gfx906"
	.amdhsa_code_object_version 6
	.protected	fft_rtc_back_len1000_factors_10_10_10_wgs_100_tpt_100_halfLds_dp_ip_CI_sbrr_dirReg ; -- Begin function fft_rtc_back_len1000_factors_10_10_10_wgs_100_tpt_100_halfLds_dp_ip_CI_sbrr_dirReg
	.globl	fft_rtc_back_len1000_factors_10_10_10_wgs_100_tpt_100_halfLds_dp_ip_CI_sbrr_dirReg
	.p2align	8
	.type	fft_rtc_back_len1000_factors_10_10_10_wgs_100_tpt_100_halfLds_dp_ip_CI_sbrr_dirReg,@function
fft_rtc_back_len1000_factors_10_10_10_wgs_100_tpt_100_halfLds_dp_ip_CI_sbrr_dirReg: ; @fft_rtc_back_len1000_factors_10_10_10_wgs_100_tpt_100_halfLds_dp_ip_CI_sbrr_dirReg
; %bb.0:
	s_load_dwordx2 s[14:15], s[4:5], 0x18
	s_load_dwordx4 s[8:11], s[4:5], 0x0
	s_load_dwordx2 s[12:13], s[4:5], 0x50
	v_mul_u32_u24_e32 v1, 0x290, v0
	v_add_u32_sdwa v5, s6, v1 dst_sel:DWORD dst_unused:UNUSED_PAD src0_sel:DWORD src1_sel:WORD_1
	s_waitcnt lgkmcnt(0)
	s_load_dwordx2 s[2:3], s[14:15], 0x0
	v_cmp_lt_u64_e64 s[0:1], s[10:11], 2
	v_mov_b32_e32 v3, 0
	v_mov_b32_e32 v1, 0
	;; [unrolled: 1-line block ×3, first 2 shown]
	s_and_b64 vcc, exec, s[0:1]
	v_mov_b32_e32 v2, 0
	s_cbranch_vccnz .LBB0_8
; %bb.1:
	s_load_dwordx2 s[0:1], s[4:5], 0x10
	s_add_u32 s6, s14, 8
	s_addc_u32 s7, s15, 0
	v_mov_b32_e32 v1, 0
	v_mov_b32_e32 v2, 0
	s_waitcnt lgkmcnt(0)
	s_add_u32 s16, s0, 8
	s_addc_u32 s17, s1, 0
	s_mov_b64 s[18:19], 1
.LBB0_2:                                ; =>This Inner Loop Header: Depth=1
	s_load_dwordx2 s[20:21], s[16:17], 0x0
                                        ; implicit-def: $vgpr7_vgpr8
	s_waitcnt lgkmcnt(0)
	v_or_b32_e32 v4, s21, v6
	v_cmp_ne_u64_e32 vcc, 0, v[3:4]
	s_and_saveexec_b64 s[0:1], vcc
	s_xor_b64 s[22:23], exec, s[0:1]
	s_cbranch_execz .LBB0_4
; %bb.3:                                ;   in Loop: Header=BB0_2 Depth=1
	v_cvt_f32_u32_e32 v4, s20
	v_cvt_f32_u32_e32 v7, s21
	s_sub_u32 s0, 0, s20
	s_subb_u32 s1, 0, s21
	v_mac_f32_e32 v4, 0x4f800000, v7
	v_rcp_f32_e32 v4, v4
	v_mul_f32_e32 v4, 0x5f7ffffc, v4
	v_mul_f32_e32 v7, 0x2f800000, v4
	v_trunc_f32_e32 v7, v7
	v_mac_f32_e32 v4, 0xcf800000, v7
	v_cvt_u32_f32_e32 v7, v7
	v_cvt_u32_f32_e32 v4, v4
	v_mul_lo_u32 v8, s0, v7
	v_mul_hi_u32 v9, s0, v4
	v_mul_lo_u32 v11, s1, v4
	v_mul_lo_u32 v10, s0, v4
	v_add_u32_e32 v8, v9, v8
	v_add_u32_e32 v8, v8, v11
	v_mul_hi_u32 v9, v4, v10
	v_mul_lo_u32 v11, v4, v8
	v_mul_hi_u32 v13, v4, v8
	v_mul_hi_u32 v12, v7, v10
	v_mul_lo_u32 v10, v7, v10
	v_mul_hi_u32 v14, v7, v8
	v_add_co_u32_e32 v9, vcc, v9, v11
	v_addc_co_u32_e32 v11, vcc, 0, v13, vcc
	v_mul_lo_u32 v8, v7, v8
	v_add_co_u32_e32 v9, vcc, v9, v10
	v_addc_co_u32_e32 v9, vcc, v11, v12, vcc
	v_addc_co_u32_e32 v10, vcc, 0, v14, vcc
	v_add_co_u32_e32 v8, vcc, v9, v8
	v_addc_co_u32_e32 v9, vcc, 0, v10, vcc
	v_add_co_u32_e32 v4, vcc, v4, v8
	v_addc_co_u32_e32 v7, vcc, v7, v9, vcc
	v_mul_lo_u32 v8, s0, v7
	v_mul_hi_u32 v9, s0, v4
	v_mul_lo_u32 v10, s1, v4
	v_mul_lo_u32 v11, s0, v4
	v_add_u32_e32 v8, v9, v8
	v_add_u32_e32 v8, v8, v10
	v_mul_lo_u32 v12, v4, v8
	v_mul_hi_u32 v13, v4, v11
	v_mul_hi_u32 v14, v4, v8
	;; [unrolled: 1-line block ×3, first 2 shown]
	v_mul_lo_u32 v11, v7, v11
	v_mul_hi_u32 v9, v7, v8
	v_add_co_u32_e32 v12, vcc, v13, v12
	v_addc_co_u32_e32 v13, vcc, 0, v14, vcc
	v_mul_lo_u32 v8, v7, v8
	v_add_co_u32_e32 v11, vcc, v12, v11
	v_addc_co_u32_e32 v10, vcc, v13, v10, vcc
	v_addc_co_u32_e32 v9, vcc, 0, v9, vcc
	v_add_co_u32_e32 v8, vcc, v10, v8
	v_addc_co_u32_e32 v9, vcc, 0, v9, vcc
	v_add_co_u32_e32 v4, vcc, v4, v8
	v_addc_co_u32_e32 v9, vcc, v7, v9, vcc
	v_mad_u64_u32 v[7:8], s[0:1], v5, v9, 0
	v_mul_hi_u32 v10, v5, v4
	v_add_co_u32_e32 v11, vcc, v10, v7
	v_addc_co_u32_e32 v12, vcc, 0, v8, vcc
	v_mad_u64_u32 v[7:8], s[0:1], v6, v4, 0
	v_mad_u64_u32 v[9:10], s[0:1], v6, v9, 0
	v_add_co_u32_e32 v4, vcc, v11, v7
	v_addc_co_u32_e32 v4, vcc, v12, v8, vcc
	v_addc_co_u32_e32 v7, vcc, 0, v10, vcc
	v_add_co_u32_e32 v4, vcc, v4, v9
	v_addc_co_u32_e32 v9, vcc, 0, v7, vcc
	v_mul_lo_u32 v10, s21, v4
	v_mul_lo_u32 v11, s20, v9
	v_mad_u64_u32 v[7:8], s[0:1], s20, v4, 0
	v_add3_u32 v8, v8, v11, v10
	v_sub_u32_e32 v10, v6, v8
	v_mov_b32_e32 v11, s21
	v_sub_co_u32_e32 v7, vcc, v5, v7
	v_subb_co_u32_e64 v10, s[0:1], v10, v11, vcc
	v_subrev_co_u32_e64 v11, s[0:1], s20, v7
	v_subbrev_co_u32_e64 v10, s[0:1], 0, v10, s[0:1]
	v_cmp_le_u32_e64 s[0:1], s21, v10
	v_cndmask_b32_e64 v12, 0, -1, s[0:1]
	v_cmp_le_u32_e64 s[0:1], s20, v11
	v_cndmask_b32_e64 v11, 0, -1, s[0:1]
	v_cmp_eq_u32_e64 s[0:1], s21, v10
	v_cndmask_b32_e64 v10, v12, v11, s[0:1]
	v_add_co_u32_e64 v11, s[0:1], 2, v4
	v_addc_co_u32_e64 v12, s[0:1], 0, v9, s[0:1]
	v_add_co_u32_e64 v13, s[0:1], 1, v4
	v_addc_co_u32_e64 v14, s[0:1], 0, v9, s[0:1]
	v_subb_co_u32_e32 v8, vcc, v6, v8, vcc
	v_cmp_ne_u32_e64 s[0:1], 0, v10
	v_cmp_le_u32_e32 vcc, s21, v8
	v_cndmask_b32_e64 v10, v14, v12, s[0:1]
	v_cndmask_b32_e64 v12, 0, -1, vcc
	v_cmp_le_u32_e32 vcc, s20, v7
	v_cndmask_b32_e64 v7, 0, -1, vcc
	v_cmp_eq_u32_e32 vcc, s21, v8
	v_cndmask_b32_e32 v7, v12, v7, vcc
	v_cmp_ne_u32_e32 vcc, 0, v7
	v_cndmask_b32_e64 v7, v13, v11, s[0:1]
	v_cndmask_b32_e32 v8, v9, v10, vcc
	v_cndmask_b32_e32 v7, v4, v7, vcc
.LBB0_4:                                ;   in Loop: Header=BB0_2 Depth=1
	s_andn2_saveexec_b64 s[0:1], s[22:23]
	s_cbranch_execz .LBB0_6
; %bb.5:                                ;   in Loop: Header=BB0_2 Depth=1
	v_cvt_f32_u32_e32 v4, s20
	s_sub_i32 s22, 0, s20
	v_rcp_iflag_f32_e32 v4, v4
	v_mul_f32_e32 v4, 0x4f7ffffe, v4
	v_cvt_u32_f32_e32 v4, v4
	v_mul_lo_u32 v7, s22, v4
	v_mul_hi_u32 v7, v4, v7
	v_add_u32_e32 v4, v4, v7
	v_mul_hi_u32 v4, v5, v4
	v_mul_lo_u32 v7, v4, s20
	v_add_u32_e32 v8, 1, v4
	v_sub_u32_e32 v7, v5, v7
	v_subrev_u32_e32 v9, s20, v7
	v_cmp_le_u32_e32 vcc, s20, v7
	v_cndmask_b32_e32 v7, v7, v9, vcc
	v_cndmask_b32_e32 v4, v4, v8, vcc
	v_add_u32_e32 v8, 1, v4
	v_cmp_le_u32_e32 vcc, s20, v7
	v_cndmask_b32_e32 v7, v4, v8, vcc
	v_mov_b32_e32 v8, v3
.LBB0_6:                                ;   in Loop: Header=BB0_2 Depth=1
	s_or_b64 exec, exec, s[0:1]
	v_mul_lo_u32 v4, v8, s20
	v_mul_lo_u32 v11, v7, s21
	v_mad_u64_u32 v[9:10], s[0:1], v7, s20, 0
	s_load_dwordx2 s[0:1], s[6:7], 0x0
	s_add_u32 s18, s18, 1
	v_add3_u32 v4, v10, v11, v4
	v_sub_co_u32_e32 v5, vcc, v5, v9
	v_subb_co_u32_e32 v4, vcc, v6, v4, vcc
	s_waitcnt lgkmcnt(0)
	v_mul_lo_u32 v4, s0, v4
	v_mul_lo_u32 v6, s1, v5
	v_mad_u64_u32 v[1:2], s[0:1], s0, v5, v[1:2]
	s_addc_u32 s19, s19, 0
	s_add_u32 s6, s6, 8
	v_add3_u32 v2, v6, v2, v4
	v_mov_b32_e32 v4, s10
	v_mov_b32_e32 v5, s11
	s_addc_u32 s7, s7, 0
	v_cmp_ge_u64_e32 vcc, s[18:19], v[4:5]
	s_add_u32 s16, s16, 8
	s_addc_u32 s17, s17, 0
	s_cbranch_vccnz .LBB0_9
; %bb.7:                                ;   in Loop: Header=BB0_2 Depth=1
	v_mov_b32_e32 v5, v7
	v_mov_b32_e32 v6, v8
	s_branch .LBB0_2
.LBB0_8:
	v_mov_b32_e32 v8, v6
	v_mov_b32_e32 v7, v5
.LBB0_9:
	s_lshl_b64 s[0:1], s[10:11], 3
	s_add_u32 s0, s14, s0
	s_addc_u32 s1, s15, s1
	s_load_dwordx2 s[6:7], s[0:1], 0x0
	s_load_dwordx2 s[10:11], s[4:5], 0x20
	v_mov_b32_e32 v42, 0
                                        ; implicit-def: $vgpr26_vgpr27
                                        ; implicit-def: $vgpr30_vgpr31
                                        ; implicit-def: $vgpr10_vgpr11
                                        ; implicit-def: $vgpr34_vgpr35
                                        ; implicit-def: $vgpr18_vgpr19
                                        ; implicit-def: $vgpr38_vgpr39
                                        ; implicit-def: $vgpr14_vgpr15
                                        ; implicit-def: $vgpr22_vgpr23
	s_waitcnt lgkmcnt(0)
	v_mad_u64_u32 v[1:2], s[0:1], s6, v7, v[1:2]
	v_mul_lo_u32 v3, s6, v8
	v_mul_lo_u32 v4, s7, v7
	s_mov_b32 s0, 0x28f5c29
	v_mul_hi_u32 v5, v0, s0
	v_cmp_gt_u64_e32 vcc, s[10:11], v[7:8]
	v_add3_u32 v2, v4, v2, v3
	v_lshlrev_b64 v[40:41], 4, v[1:2]
	v_mul_u32_u24_e32 v3, 0x64, v5
	v_sub_u32_e32 v43, v0, v3
                                        ; implicit-def: $vgpr2_vgpr3
                                        ; implicit-def: $vgpr6_vgpr7
	s_and_saveexec_b64 s[4:5], vcc
	s_cbranch_execz .LBB0_11
; %bb.10:
	v_mad_u64_u32 v[0:1], s[0:1], s2, v43, 0
	v_add_u32_e32 v5, 0x64, v43
	v_mov_b32_e32 v4, s13
	v_mad_u64_u32 v[1:2], s[0:1], s3, v43, v[1:2]
	v_mad_u64_u32 v[2:3], s[0:1], s2, v5, 0
	v_add_co_u32_e64 v8, s[0:1], s12, v40
	v_addc_co_u32_e64 v9, s[0:1], v4, v41, s[0:1]
	v_mad_u64_u32 v[3:4], s[0:1], s3, v5, v[3:4]
	v_add_u32_e32 v6, 0xc8, v43
	v_mad_u64_u32 v[4:5], s[0:1], s2, v6, 0
	v_lshlrev_b64 v[0:1], 4, v[0:1]
	v_mov_b32_e32 v42, v43
	v_add_co_u32_e64 v44, s[0:1], v8, v0
	v_addc_co_u32_e64 v45, s[0:1], v9, v1, s[0:1]
	v_lshlrev_b64 v[0:1], 4, v[2:3]
	v_mov_b32_e32 v2, v5
	v_mad_u64_u32 v[2:3], s[0:1], s3, v6, v[2:3]
	v_add_u32_e32 v3, 0x12c, v43
	v_mad_u64_u32 v[6:7], s[0:1], s2, v3, 0
	v_add_co_u32_e64 v46, s[0:1], v8, v0
	v_mov_b32_e32 v5, v2
	v_mov_b32_e32 v2, v7
	v_addc_co_u32_e64 v47, s[0:1], v9, v1, s[0:1]
	v_lshlrev_b64 v[0:1], 4, v[4:5]
	v_mad_u64_u32 v[2:3], s[0:1], s3, v3, v[2:3]
	v_add_u32_e32 v5, 0x190, v43
	v_mad_u64_u32 v[3:4], s[0:1], s2, v5, 0
	v_add_co_u32_e64 v48, s[0:1], v8, v0
	v_mov_b32_e32 v7, v2
	v_mov_b32_e32 v2, v4
	v_addc_co_u32_e64 v49, s[0:1], v9, v1, s[0:1]
	v_lshlrev_b64 v[0:1], 4, v[6:7]
	v_mad_u64_u32 v[4:5], s[0:1], s3, v5, v[2:3]
	v_add_u32_e32 v7, 0x1f4, v43
	v_mad_u64_u32 v[5:6], s[0:1], s2, v7, 0
	v_add_co_u32_e64 v50, s[0:1], v8, v0
	v_mov_b32_e32 v2, v6
	v_addc_co_u32_e64 v51, s[0:1], v9, v1, s[0:1]
	v_lshlrev_b64 v[0:1], 4, v[3:4]
	v_mad_u64_u32 v[2:3], s[0:1], s3, v7, v[2:3]
	v_add_u32_e32 v7, 0x258, v43
	v_mad_u64_u32 v[3:4], s[0:1], s2, v7, 0
	v_add_co_u32_e64 v52, s[0:1], v8, v0
	v_mov_b32_e32 v6, v2
	v_mov_b32_e32 v2, v4
	v_addc_co_u32_e64 v53, s[0:1], v9, v1, s[0:1]
	v_lshlrev_b64 v[0:1], 4, v[5:6]
	v_mad_u64_u32 v[4:5], s[0:1], s3, v7, v[2:3]
	v_add_u32_e32 v7, 0x2bc, v43
	v_mad_u64_u32 v[5:6], s[0:1], s2, v7, 0
	v_add_co_u32_e64 v54, s[0:1], v8, v0
	;; [unrolled: 15-line block ×3, first 2 shown]
	v_mov_b32_e32 v2, v6
	v_addc_co_u32_e64 v59, s[0:1], v9, v1, s[0:1]
	v_lshlrev_b64 v[0:1], 4, v[3:4]
	v_mad_u64_u32 v[2:3], s[0:1], s3, v7, v[2:3]
	v_add_co_u32_e64 v60, s[0:1], v8, v0
	v_mov_b32_e32 v6, v2
	v_addc_co_u32_e64 v61, s[0:1], v9, v1, s[0:1]
	v_lshlrev_b64 v[0:1], 4, v[5:6]
	v_add_co_u32_e64 v62, s[0:1], v8, v0
	v_addc_co_u32_e64 v63, s[0:1], v9, v1, s[0:1]
	global_load_dwordx4 v[20:23], v[44:45], off
	global_load_dwordx4 v[12:15], v[46:47], off
	;; [unrolled: 1-line block ×10, first 2 shown]
.LBB0_11:
	s_or_b64 exec, exec, s[4:5]
	s_waitcnt vmcnt(7)
	v_add_f64 v[44:45], v[36:37], v[20:21]
	s_waitcnt vmcnt(3)
	v_add_f64 v[46:47], v[28:29], v[32:33]
	s_waitcnt vmcnt(1)
	v_add_f64 v[48:49], v[38:39], -v[26:27]
	v_add_f64 v[52:53], v[24:25], v[36:37]
	s_mov_b32 s0, 0x134454ff
	s_mov_b32 s1, 0xbfee6f0e
	;; [unrolled: 1-line block ×4, first 2 shown]
	v_add_f64 v[44:45], v[32:33], v[44:45]
	v_fma_f64 v[46:47], v[46:47], -0.5, v[20:21]
	v_add_f64 v[50:51], v[34:35], -v[30:31]
	v_add_f64 v[54:55], v[36:37], -v[32:33]
	;; [unrolled: 1-line block ×3, first 2 shown]
	v_fma_f64 v[20:21], v[52:53], -0.5, v[20:21]
	v_add_f64 v[52:53], v[30:31], v[34:35]
	s_mov_b32 s4, 0x4755a5e
	v_add_f64 v[44:45], v[28:29], v[44:45]
	v_fma_f64 v[58:59], v[48:49], s[0:1], v[46:47]
	v_fma_f64 v[46:47], v[48:49], s[6:7], v[46:47]
	s_mov_b32 s5, 0xbfe2cf23
	s_mov_b32 s11, 0x3fe2cf23
	;; [unrolled: 1-line block ×3, first 2 shown]
	v_add_f64 v[54:55], v[56:57], v[54:55]
	v_add_f64 v[60:61], v[32:33], -v[36:37]
	v_add_f64 v[44:45], v[24:25], v[44:45]
	v_fma_f64 v[56:57], v[50:51], s[4:5], v[58:59]
	v_fma_f64 v[46:47], v[50:51], s[10:11], v[46:47]
	v_fma_f64 v[58:59], v[50:51], s[6:7], v[20:21]
	v_add_f64 v[62:63], v[28:29], -v[24:25]
	v_add_f64 v[64:65], v[38:39], v[22:23]
	v_fma_f64 v[52:53], v[52:53], -0.5, v[22:23]
	v_add_f64 v[24:25], v[36:37], -v[24:25]
	v_fma_f64 v[20:21], v[50:51], s[0:1], v[20:21]
	s_mov_b32 s14, 0x372fe950
	s_mov_b32 s15, 0x3fd3c6ef
	v_fma_f64 v[36:37], v[54:55], s[14:15], v[56:57]
	v_fma_f64 v[46:47], v[54:55], s[14:15], v[46:47]
	;; [unrolled: 1-line block ×3, first 2 shown]
	v_add_f64 v[56:57], v[62:63], v[60:61]
	v_add_f64 v[50:51], v[34:35], v[64:65]
	v_fma_f64 v[58:59], v[24:25], s[6:7], v[52:53]
	v_add_f64 v[28:29], v[32:33], -v[28:29]
	v_add_f64 v[32:33], v[38:39], -v[34:35]
	;; [unrolled: 1-line block ×3, first 2 shown]
	v_fma_f64 v[52:53], v[24:25], s[0:1], v[52:53]
	v_add_f64 v[62:63], v[26:27], v[38:39]
	v_fma_f64 v[20:21], v[48:49], s[10:11], v[20:21]
	v_add_f64 v[48:49], v[30:31], v[50:51]
	;; [unrolled: 2-line block ×4, first 2 shown]
	v_fma_f64 v[52:53], v[28:29], s[4:5], v[52:53]
	v_fma_f64 v[22:23], v[62:63], -0.5, v[22:23]
	v_fma_f64 v[56:57], v[56:57], s[14:15], v[20:21]
	v_add_f64 v[20:21], v[16:17], v[12:13]
	v_add_f64 v[48:49], v[26:27], v[48:49]
	v_fma_f64 v[54:55], v[54:55], -0.5, v[12:13]
	s_waitcnt vmcnt(0)
	v_add_f64 v[60:61], v[18:19], -v[2:3]
	v_fma_f64 v[58:59], v[32:33], s[14:15], v[58:59]
	v_fma_f64 v[52:53], v[32:33], s[14:15], v[52:53]
	;; [unrolled: 1-line block ×3, first 2 shown]
	v_add_f64 v[34:35], v[34:35], -v[38:39]
	v_add_f64 v[26:27], v[30:31], -v[26:27]
	v_fma_f64 v[22:23], v[28:29], s[6:7], v[22:23]
	v_add_f64 v[20:21], v[8:9], v[20:21]
	v_fma_f64 v[28:29], v[60:61], s[0:1], v[54:55]
	v_add_f64 v[30:31], v[10:11], -v[6:7]
	v_add_f64 v[38:39], v[16:17], -v[8:9]
	;; [unrolled: 1-line block ×3, first 2 shown]
	v_add_f64 v[64:65], v[0:1], v[16:17]
	v_fma_f64 v[32:33], v[24:25], s[10:11], v[32:33]
	v_add_f64 v[66:67], v[6:7], v[10:11]
	v_add_f64 v[26:27], v[26:27], v[34:35]
	v_fma_f64 v[22:23], v[24:25], s[4:5], v[22:23]
	v_add_f64 v[20:21], v[4:5], v[20:21]
	v_fma_f64 v[24:25], v[30:31], s[4:5], v[28:29]
	v_add_f64 v[28:29], v[62:63], v[38:39]
	v_fma_f64 v[12:13], v[64:65], -0.5, v[12:13]
	v_fma_f64 v[34:35], v[60:61], s[6:7], v[54:55]
	v_fma_f64 v[38:39], v[66:67], -0.5, v[14:15]
	v_add_f64 v[54:55], v[16:17], -v[0:1]
	v_fma_f64 v[62:63], v[26:27], s[14:15], v[32:33]
	v_fma_f64 v[64:65], v[26:27], s[14:15], v[22:23]
	v_add_f64 v[26:27], v[0:1], v[20:21]
	v_add_f64 v[20:21], v[2:3], v[18:19]
	v_add_f64 v[66:67], v[8:9], -v[4:5]
	v_fma_f64 v[32:33], v[30:31], s[10:11], v[34:35]
	v_add_f64 v[68:69], v[18:19], -v[10:11]
	v_fma_f64 v[34:35], v[54:55], s[6:7], v[38:39]
	v_add_f64 v[70:71], v[2:3], -v[6:7]
	v_add_f64 v[0:1], v[4:5], -v[0:1]
	v_add_f64 v[4:5], v[18:19], v[14:15]
	v_fma_f64 v[20:21], v[20:21], -0.5, v[14:15]
	v_fma_f64 v[22:23], v[30:31], s[6:7], v[12:13]
	v_add_f64 v[8:9], v[8:9], -v[16:17]
	v_fma_f64 v[12:13], v[30:31], s[0:1], v[12:13]
	v_fma_f64 v[14:15], v[66:67], s[10:11], v[34:35]
	v_add_f64 v[16:17], v[70:71], v[68:69]
	v_add_f64 v[18:19], v[10:11], -v[18:19]
	v_add_f64 v[34:35], v[6:7], -v[2:3]
	v_fma_f64 v[30:31], v[66:67], s[0:1], v[20:21]
	v_fma_f64 v[20:21], v[66:67], s[6:7], v[20:21]
	v_add_f64 v[4:5], v[10:11], v[4:5]
	v_fma_f64 v[10:11], v[54:55], s[0:1], v[38:39]
	v_add_f64 v[0:1], v[0:1], v[8:9]
	v_fma_f64 v[8:9], v[60:61], s[10:11], v[12:13]
	v_fma_f64 v[12:13], v[16:17], s[14:15], v[14:15]
	v_add_f64 v[18:19], v[34:35], v[18:19]
	v_fma_f64 v[14:15], v[54:55], s[10:11], v[30:31]
	;; [unrolled: 3-line block ×3, first 2 shown]
	v_fma_f64 v[22:23], v[60:61], s[4:5], v[22:23]
	v_fma_f64 v[10:11], v[28:29], s[14:15], v[32:33]
	;; [unrolled: 1-line block ×3, first 2 shown]
	v_mul_f64 v[28:29], v[12:13], s[4:5]
	v_fma_f64 v[14:15], v[18:19], s[14:15], v[14:15]
	v_fma_f64 v[18:19], v[18:19], s[14:15], v[20:21]
	v_add_f64 v[33:34], v[2:3], v[4:5]
	v_fma_f64 v[2:3], v[16:17], s[14:15], v[6:7]
	v_fma_f64 v[22:23], v[0:1], s[14:15], v[22:23]
	;; [unrolled: 1-line block ×3, first 2 shown]
	s_mov_b32 s16, 0x9b97f4a8
	s_mov_b32 s17, 0x3fe9e377
	v_mul_f64 v[4:5], v[14:15], s[0:1]
	v_mul_f64 v[6:7], v[18:19], s[0:1]
	s_mov_b32 s19, 0xbfd3c6ef
	v_mul_f64 v[16:17], v[2:3], s[4:5]
	s_mov_b32 s18, s14
	v_mul_f64 v[20:21], v[24:25], s[10:11]
	v_fma_f64 v[28:29], v[24:25], s[16:17], v[28:29]
	s_mov_b32 s21, 0xbfe9e377
	s_mov_b32 s20, s16
	v_mul_f64 v[24:25], v[22:23], s[6:7]
	v_mul_f64 v[18:19], v[18:19], s[18:19]
	;; [unrolled: 1-line block ×3, first 2 shown]
	v_fma_f64 v[38:39], v[22:23], s[14:15], v[4:5]
	v_fma_f64 v[54:55], v[8:9], s[18:19], v[6:7]
	v_fma_f64 v[60:61], v[10:11], s[20:21], v[16:17]
	v_fma_f64 v[66:67], v[12:13], s[16:17], v[20:21]
	v_add_f64 v[0:1], v[26:27], v[44:45]
	v_add_f64 v[2:3], v[36:37], v[28:29]
	v_fma_f64 v[68:69], v[14:15], s[14:15], v[24:25]
	v_fma_f64 v[70:71], v[8:9], s[6:7], v[18:19]
	;; [unrolled: 1-line block ×3, first 2 shown]
	v_add_f64 v[4:5], v[50:51], v[38:39]
	v_add_f64 v[6:7], v[56:57], v[54:55]
	;; [unrolled: 1-line block ×3, first 2 shown]
	v_add_f64 v[10:11], v[44:45], -v[26:27]
	v_add_f64 v[25:26], v[36:37], -v[28:29]
	;; [unrolled: 1-line block ×5, first 2 shown]
	v_mul_u32_u24_e32 v20, 10, v43
	v_add_f64 v[12:13], v[33:34], v[48:49]
	v_add_f64 v[14:15], v[58:59], v[66:67]
	v_lshl_add_u32 v20, v20, 3, 0
	s_movk_i32 s22, 0xffb8
	v_add_f64 v[16:17], v[62:63], v[68:69]
	v_add_f64 v[18:19], v[64:65], v[70:71]
	ds_write_b128 v20, v[0:3]
	ds_write_b128 v20, v[4:7] offset:16
	ds_write_b128 v20, v[8:11] offset:32
	;; [unrolled: 1-line block ×4, first 2 shown]
	v_mad_i32_i24 v0, v43, s22, v20
	s_movk_i32 s22, 0xcd
	v_add_f64 v[21:22], v[52:53], v[72:73]
	v_add_f64 v[23:24], v[48:49], -v[33:34]
	v_mul_lo_u16_sdwa v1, v43, s22 dst_sel:DWORD dst_unused:UNUSED_PAD src0_sel:BYTE_0 src1_sel:DWORD
	v_add_f64 v[33:34], v[58:59], -v[66:67]
	v_add_f64 v[35:36], v[62:63], -v[68:69]
	v_lshrrev_b16_e32 v2, 11, v1
	v_add_f64 v[44:45], v[64:65], -v[70:71]
	v_add_f64 v[46:47], v[52:53], -v[72:73]
	v_mul_lo_u16_e32 v1, 10, v2
	v_sub_u16_e32 v1, v43, v1
	v_mov_b32_e32 v3, 9
	v_mul_u32_u24_sdwa v3, v1, v3 dst_sel:DWORD dst_unused:UNUSED_PAD src0_sel:BYTE_0 src1_sel:DWORD
	v_add_u32_e32 v4, 0x400, v0
	v_add_u32_e32 v8, 0x800, v0
	;; [unrolled: 1-line block ×4, first 2 shown]
	v_lshlrev_b32_e32 v3, 4, v3
	s_waitcnt lgkmcnt(0)
	s_barrier
	ds_read2_b64 v[25:28], v0 offset1:100
	ds_read2_b64 v[29:32], v4 offset0:72 offset1:172
	ds_read2_b64 v[48:51], v8 offset0:144 offset1:244
	;; [unrolled: 1-line block ×4, first 2 shown]
	s_waitcnt lgkmcnt(0)
	s_barrier
	ds_write_b128 v20, v[12:15]
	ds_write_b128 v20, v[16:19] offset:16
	ds_write_b128 v20, v[21:24] offset:32
	;; [unrolled: 1-line block ×4, first 2 shown]
	s_waitcnt lgkmcnt(0)
	s_barrier
	global_load_dwordx4 v[11:14], v3, s[8:9]
	global_load_dwordx4 v[15:18], v3, s[8:9] offset:16
	global_load_dwordx4 v[21:24], v3, s[8:9] offset:48
	global_load_dwordx4 v[33:36], v3, s[8:9] offset:80
	global_load_dwordx4 v[44:47], v3, s[8:9] offset:32
	global_load_dwordx4 v[60:63], v3, s[8:9] offset:64
	global_load_dwordx4 v[64:67], v3, s[8:9] offset:112
	global_load_dwordx4 v[68:71], v3, s[8:9] offset:96
	global_load_dwordx4 v[72:75], v3, s[8:9] offset:128
	ds_read2_b64 v[76:79], v0 offset1:100
	ds_read2_b64 v[80:83], v4 offset0:72 offset1:172
	ds_read2_b64 v[84:87], v8 offset0:144 offset1:244
	;; [unrolled: 1-line block ×4, first 2 shown]
	v_mov_b32_e32 v3, 3
	v_mul_u32_u24_e32 v2, 0x320, v2
	v_lshlrev_b32_sdwa v1, v3, v1 dst_sel:DWORD dst_unused:UNUSED_PAD src0_sel:DWORD src1_sel:BYTE_0
	v_add3_u32 v39, 0, v2, v1
	s_waitcnt vmcnt(0) lgkmcnt(0)
	s_barrier
	v_mul_f64 v[5:6], v[78:79], v[13:14]
	v_mul_f64 v[13:14], v[27:28], v[13:14]
	;; [unrolled: 1-line block ×4, first 2 shown]
	v_fma_f64 v[5:6], v[27:28], v[11:12], v[5:6]
	v_mul_f64 v[27:28], v[84:85], v[23:24]
	v_fma_f64 v[11:12], v[78:79], v[11:12], -v[13:14]
	v_mul_f64 v[13:14], v[88:89], v[35:36]
	v_fma_f64 v[29:30], v[29:30], v[15:16], v[37:38]
	v_mul_f64 v[37:38], v[82:83], v[46:47]
	v_mul_f64 v[46:47], v[31:32], v[46:47]
	;; [unrolled: 1-line block ×3, first 2 shown]
	v_fma_f64 v[15:16], v[80:81], v[15:16], -v[17:18]
	v_fma_f64 v[17:18], v[48:49], v[21:22], v[27:28]
	v_mul_f64 v[27:28], v[86:87], v[62:63]
	v_fma_f64 v[13:14], v[52:53], v[33:34], v[13:14]
	v_mul_f64 v[48:49], v[56:57], v[66:67]
	v_fma_f64 v[31:32], v[31:32], v[44:45], v[37:38]
	v_fma_f64 v[37:38], v[82:83], v[44:45], -v[46:47]
	v_mul_f64 v[44:45], v[92:93], v[66:67]
	v_fma_f64 v[21:22], v[84:85], v[21:22], -v[23:24]
	v_mul_f64 v[23:24], v[50:51], v[62:63]
	v_fma_f64 v[27:28], v[50:51], v[60:61], v[27:28]
	v_add_f64 v[46:47], v[17:18], v[13:14]
	v_fma_f64 v[48:49], v[92:93], v[64:65], -v[48:49]
	v_mul_f64 v[35:36], v[52:53], v[35:36]
	v_mul_f64 v[50:51], v[90:91], v[70:71]
	v_fma_f64 v[44:45], v[56:57], v[64:65], v[44:45]
	v_mul_f64 v[52:53], v[54:55], v[70:71]
	v_fma_f64 v[23:24], v[86:87], v[60:61], -v[23:24]
	v_add_f64 v[56:57], v[25:26], v[29:30]
	v_fma_f64 v[46:47], v[46:47], -0.5, v[25:26]
	v_add_f64 v[60:61], v[15:16], -v[48:49]
	v_fma_f64 v[33:34], v[88:89], v[33:34], -v[35:36]
	v_fma_f64 v[35:36], v[54:55], v[68:69], v[50:51]
	v_add_f64 v[54:55], v[29:30], v[44:45]
	v_fma_f64 v[50:51], v[90:91], v[68:69], -v[52:53]
	v_mul_f64 v[52:53], v[94:95], v[74:75]
	v_mul_f64 v[62:63], v[58:59], v[74:75]
	v_add_f64 v[56:57], v[56:57], v[17:18]
	v_fma_f64 v[64:65], v[60:61], s[0:1], v[46:47]
	v_add_f64 v[66:67], v[21:22], -v[33:34]
	v_add_f64 v[68:69], v[29:30], -v[17:18]
	;; [unrolled: 1-line block ×3, first 2 shown]
	v_fma_f64 v[46:47], v[60:61], s[6:7], v[46:47]
	v_fma_f64 v[25:26], v[54:55], -0.5, v[25:26]
	v_fma_f64 v[52:53], v[58:59], v[72:73], v[52:53]
	v_add_f64 v[58:59], v[21:22], v[33:34]
	v_add_f64 v[74:75], v[76:77], v[15:16]
	v_fma_f64 v[54:55], v[94:95], v[72:73], -v[62:63]
	v_add_f64 v[56:57], v[56:57], v[13:14]
	v_fma_f64 v[62:63], v[66:67], s[4:5], v[64:65]
	v_add_f64 v[64:65], v[68:69], v[70:71]
	v_fma_f64 v[46:47], v[66:67], s[10:11], v[46:47]
	v_fma_f64 v[68:69], v[66:67], s[6:7], v[25:26]
	v_add_f64 v[70:71], v[17:18], -v[29:30]
	v_add_f64 v[72:73], v[13:14], -v[44:45]
	v_fma_f64 v[25:26], v[66:67], s[0:1], v[25:26]
	v_fma_f64 v[58:59], v[58:59], -0.5, v[76:77]
	v_add_f64 v[29:30], v[29:30], -v[44:45]
	v_add_f64 v[66:67], v[74:75], v[21:22]
	v_add_f64 v[44:45], v[56:57], v[44:45]
	v_fma_f64 v[56:57], v[64:65], s[14:15], v[62:63]
	v_fma_f64 v[46:47], v[64:65], s[14:15], v[46:47]
	;; [unrolled: 1-line block ×3, first 2 shown]
	v_add_f64 v[64:65], v[70:71], v[72:73]
	v_fma_f64 v[25:26], v[60:61], s[10:11], v[25:26]
	v_fma_f64 v[68:69], v[29:30], s[6:7], v[58:59]
	v_add_f64 v[13:14], v[17:18], -v[13:14]
	v_add_f64 v[17:18], v[15:16], -v[21:22]
	;; [unrolled: 1-line block ×3, first 2 shown]
	v_fma_f64 v[58:59], v[29:30], s[0:1], v[58:59]
	v_add_f64 v[72:73], v[15:16], v[48:49]
	v_add_f64 v[60:61], v[66:67], v[33:34]
	;; [unrolled: 1-line block ×3, first 2 shown]
	v_fma_f64 v[62:63], v[64:65], s[14:15], v[62:63]
	v_fma_f64 v[25:26], v[64:65], s[14:15], v[25:26]
	v_add_f64 v[64:65], v[5:6], v[31:32]
	v_fma_f64 v[68:69], v[13:14], s[10:11], v[68:69]
	v_add_f64 v[17:18], v[17:18], v[70:71]
	v_fma_f64 v[58:59], v[13:14], s[4:5], v[58:59]
	v_fma_f64 v[70:71], v[72:73], -0.5, v[76:77]
	v_fma_f64 v[66:67], v[66:67], -0.5, v[5:6]
	v_add_f64 v[72:73], v[37:38], -v[54:55]
	v_add_f64 v[15:16], v[21:22], -v[15:16]
	;; [unrolled: 1-line block ×3, first 2 shown]
	v_add_f64 v[33:34], v[64:65], v[27:28]
	v_add_f64 v[74:75], v[31:32], -v[27:28]
	v_add_f64 v[76:77], v[52:53], -v[35:36]
	v_add_f64 v[60:61], v[60:61], v[48:49]
	v_fma_f64 v[68:69], v[17:18], s[14:15], v[68:69]
	v_fma_f64 v[17:18], v[17:18], s[14:15], v[58:59]
	;; [unrolled: 1-line block ×5, first 2 shown]
	v_add_f64 v[64:65], v[23:24], -v[50:51]
	v_add_f64 v[70:71], v[31:32], v[52:53]
	v_add_f64 v[78:79], v[23:24], v[50:51]
	v_add_f64 v[15:16], v[15:16], v[21:22]
	v_add_f64 v[21:22], v[33:34], v[35:36]
	v_add_f64 v[33:34], v[74:75], v[76:77]
	v_add_f64 v[74:75], v[37:38], v[54:55]
	v_fma_f64 v[58:59], v[29:30], s[10:11], v[58:59]
	v_fma_f64 v[13:14], v[29:30], s[4:5], v[13:14]
	v_fma_f64 v[5:6], v[70:71], -0.5, v[5:6]
	v_fma_f64 v[29:30], v[64:65], s[4:5], v[48:49]
	v_fma_f64 v[48:49], v[78:79], -0.5, v[11:12]
	v_add_f64 v[70:71], v[31:32], -v[52:53]
	v_add_f64 v[78:79], v[27:28], -v[35:36]
	v_fma_f64 v[74:75], v[74:75], -0.5, v[11:12]
	v_fma_f64 v[58:59], v[15:16], s[14:15], v[58:59]
	v_fma_f64 v[13:14], v[15:16], s[14:15], v[13:14]
	v_add_f64 v[15:16], v[21:22], v[52:53]
	v_fma_f64 v[21:22], v[33:34], s[14:15], v[29:30]
	v_add_f64 v[27:28], v[27:28], -v[31:32]
	v_fma_f64 v[29:30], v[70:71], s[6:7], v[48:49]
	v_add_f64 v[31:32], v[37:38], -v[23:24]
	v_add_f64 v[80:81], v[54:55], -v[50:51]
	v_add_f64 v[11:12], v[11:12], v[37:38]
	v_fma_f64 v[82:83], v[78:79], s[0:1], v[74:75]
	v_add_f64 v[37:38], v[23:24], -v[37:38]
	v_add_f64 v[84:85], v[50:51], -v[54:55]
	v_fma_f64 v[74:75], v[78:79], s[6:7], v[74:75]
	v_fma_f64 v[48:49], v[70:71], s[0:1], v[48:49]
	;; [unrolled: 1-line block ×3, first 2 shown]
	v_add_f64 v[31:32], v[31:32], v[80:81]
	v_fma_f64 v[76:77], v[64:65], s[6:7], v[5:6]
	v_add_f64 v[35:36], v[35:36], -v[52:53]
	v_fma_f64 v[5:6], v[64:65], s[0:1], v[5:6]
	v_add_f64 v[11:12], v[11:12], v[23:24]
	v_fma_f64 v[23:24], v[70:71], s[10:11], v[82:83]
	v_add_f64 v[37:38], v[37:38], v[84:85]
	v_fma_f64 v[52:53], v[70:71], s[4:5], v[74:75]
	v_fma_f64 v[66:67], v[72:73], s[6:7], v[66:67]
	;; [unrolled: 1-line block ×5, first 2 shown]
	v_add_f64 v[27:28], v[27:28], v[35:36]
	v_fma_f64 v[5:6], v[72:73], s[10:11], v[5:6]
	v_fma_f64 v[23:24], v[37:38], s[14:15], v[23:24]
	;; [unrolled: 1-line block ×4, first 2 shown]
	v_add_f64 v[11:12], v[11:12], v[50:51]
	v_fma_f64 v[31:32], v[31:32], s[14:15], v[48:49]
	v_mul_f64 v[37:38], v[29:30], s[4:5]
	v_fma_f64 v[48:49], v[27:28], s[14:15], v[76:77]
	v_fma_f64 v[5:6], v[27:28], s[14:15], v[5:6]
	v_mul_f64 v[50:51], v[23:24], s[0:1]
	v_mul_f64 v[52:53], v[35:36], s[0:1]
	v_fma_f64 v[33:34], v[33:34], s[14:15], v[66:67]
	v_add_f64 v[11:12], v[11:12], v[54:55]
	v_mul_f64 v[54:55], v[31:32], s[4:5]
	v_fma_f64 v[37:38], v[21:22], s[16:17], v[37:38]
	v_mul_f64 v[29:30], v[29:30], s[16:17]
	v_mul_f64 v[35:36], v[35:36], s[18:19]
	;; [unrolled: 1-line block ×4, first 2 shown]
	v_fma_f64 v[50:51], v[48:49], s[14:15], v[50:51]
	v_fma_f64 v[52:53], v[5:6], s[18:19], v[52:53]
	;; [unrolled: 1-line block ×3, first 2 shown]
	v_add_f64 v[27:28], v[44:45], v[15:16]
	v_add_f64 v[64:65], v[56:57], v[37:38]
	v_fma_f64 v[21:22], v[21:22], s[10:11], v[29:30]
	v_fma_f64 v[5:6], v[5:6], s[6:7], v[35:36]
	;; [unrolled: 1-line block ×4, first 2 shown]
	v_add_f64 v[31:32], v[62:63], v[50:51]
	v_add_f64 v[33:34], v[25:26], v[52:53]
	;; [unrolled: 1-line block ×3, first 2 shown]
	v_add_f64 v[15:16], v[44:45], -v[15:16]
	v_add_f64 v[37:38], v[56:57], -v[37:38]
	;; [unrolled: 1-line block ×5, first 2 shown]
	v_add_f64 v[48:49], v[60:61], v[11:12]
	v_add_f64 v[66:67], v[68:69], v[21:22]
	;; [unrolled: 1-line block ×4, first 2 shown]
	v_add_f64 v[50:51], v[60:61], -v[11:12]
	v_add_f64 v[52:53], v[13:14], -v[5:6]
	;; [unrolled: 1-line block ×3, first 2 shown]
	ds_write2_b64 v39, v[27:28], v[64:65] offset1:10
	ds_write2_b64 v39, v[31:32], v[33:34] offset0:20 offset1:30
	ds_write2_b64 v39, v[35:36], v[15:16] offset0:40 offset1:50
	;; [unrolled: 1-line block ×4, first 2 shown]
	s_waitcnt lgkmcnt(0)
	s_barrier
	ds_read2_b64 v[0:3], v0 offset1:100
	ds_read2_b64 v[4:7], v4 offset0:72 offset1:172
	ds_read2_b64 v[16:19], v8 offset0:144 offset1:244
	;; [unrolled: 1-line block ×4, first 2 shown]
	v_add_f64 v[70:71], v[58:59], v[23:24]
	v_add_f64 v[21:22], v[68:69], -v[21:22]
	v_add_f64 v[23:24], v[58:59], -v[23:24]
	s_waitcnt lgkmcnt(0)
	s_barrier
	ds_write2_b64 v39, v[48:49], v[66:67] offset1:10
	ds_write2_b64 v39, v[70:71], v[72:73] offset0:20 offset1:30
	ds_write2_b64 v39, v[74:75], v[50:51] offset0:40 offset1:50
	;; [unrolled: 1-line block ×4, first 2 shown]
	s_waitcnt lgkmcnt(0)
	s_barrier
	s_and_saveexec_b64 s[22:23], vcc
	s_cbranch_execz .LBB0_13
; %bb.12:
	v_mul_u32_u24_e32 v21, 9, v43
	v_lshlrev_b32_e32 v37, 4, v21
	global_load_dwordx4 v[21:24], v37, s[8:9] offset:1488
	global_load_dwordx4 v[25:28], v37, s[8:9] offset:1504
	;; [unrolled: 1-line block ×9, first 2 shown]
	v_mul_i32_i24_e32 v37, 0xffffffb8, v43
	v_add_u32_e32 v20, v20, v37
	v_add_u32_e32 v37, 0x800, v20
	;; [unrolled: 1-line block ×5, first 2 shown]
	ds_read2_b64 v[64:67], v37 offset0:144 offset1:244
	ds_read2_b64 v[68:71], v20 offset1:100
	ds_read2_b64 v[72:75], v38 offset0:88 offset1:188
	ds_read2_b64 v[76:79], v39 offset0:72 offset1:172
	;; [unrolled: 1-line block ×3, first 2 shown]
	s_waitcnt vmcnt(8) lgkmcnt(4)
	v_mul_f64 v[37:38], v[64:65], v[23:24]
	v_mul_f64 v[23:24], v[16:17], v[23:24]
	s_waitcnt vmcnt(7)
	v_mul_f64 v[84:85], v[18:19], v[25:26]
	v_mul_f64 v[18:19], v[18:19], v[27:28]
	s_waitcnt vmcnt(6) lgkmcnt(2)
	v_mul_f64 v[86:87], v[72:73], v[31:32]
	v_mul_f64 v[31:32], v[12:13], v[31:32]
	s_waitcnt vmcnt(5)
	v_mul_f64 v[88:89], v[14:15], v[33:34]
	v_mul_f64 v[14:15], v[14:15], v[35:36]
	s_waitcnt vmcnt(4) lgkmcnt(1)
	v_mul_f64 v[90:91], v[76:77], v[46:47]
	v_mul_f64 v[46:47], v[4:5], v[46:47]
	s_waitcnt vmcnt(3)
	v_mul_f64 v[92:93], v[8:9], v[50:51]
	s_waitcnt vmcnt(2)
	v_mul_f64 v[94:95], v[6:7], v[52:53]
	v_mul_f64 v[6:7], v[6:7], v[54:55]
	s_waitcnt vmcnt(1)
	v_mul_f64 v[96:97], v[10:11], v[56:57]
	v_mul_f64 v[10:11], v[10:11], v[58:59]
	s_waitcnt lgkmcnt(0)
	v_mul_f64 v[50:51], v[80:81], v[50:51]
	s_waitcnt vmcnt(0)
	v_mul_f64 v[98:99], v[2:3], v[60:61]
	v_mul_f64 v[2:3], v[2:3], v[62:63]
	v_fma_f64 v[16:17], v[16:17], v[21:22], v[37:38]
	v_fma_f64 v[20:21], v[64:65], v[21:22], -v[23:24]
	v_fma_f64 v[22:23], v[66:67], v[27:28], v[84:85]
	v_fma_f64 v[18:19], v[66:67], v[25:26], -v[18:19]
	v_fma_f64 v[12:13], v[12:13], v[29:30], v[86:87]
	v_fma_f64 v[24:25], v[72:73], v[29:30], -v[31:32]
	v_fma_f64 v[26:27], v[74:75], v[35:36], v[88:89]
	v_fma_f64 v[14:15], v[74:75], v[33:34], -v[14:15]
	v_fma_f64 v[28:29], v[76:77], v[44:45], -v[46:47]
	v_fma_f64 v[30:31], v[80:81], v[48:49], -v[92:93]
	v_fma_f64 v[32:33], v[78:79], v[54:55], v[94:95]
	v_fma_f64 v[34:35], v[82:83], v[58:59], v[96:97]
	v_fma_f64 v[6:7], v[78:79], v[52:53], -v[6:7]
	v_fma_f64 v[10:11], v[82:83], v[56:57], -v[10:11]
	v_fma_f64 v[4:5], v[4:5], v[44:45], v[90:91]
	v_fma_f64 v[8:9], v[8:9], v[48:49], v[50:51]
	;; [unrolled: 1-line block ×3, first 2 shown]
	v_fma_f64 v[2:3], v[70:71], v[60:61], -v[2:3]
	v_add_f64 v[38:39], v[28:29], -v[20:21]
	v_add_f64 v[43:44], v[30:31], -v[24:25]
	;; [unrolled: 1-line block ×10, first 2 shown]
	v_add_f64 v[76:77], v[18:19], v[14:15]
	v_add_f64 v[78:79], v[6:7], v[10:11]
	;; [unrolled: 1-line block ×6, first 2 shown]
	v_add_f64 v[70:71], v[18:19], -v[6:7]
	v_add_f64 v[72:73], v[14:15], -v[10:11]
	v_add_f64 v[74:75], v[6:7], v[2:3]
	v_add_f64 v[88:89], v[18:19], -v[14:15]
	v_add_f64 v[92:93], v[22:23], v[26:27]
	v_add_f64 v[94:95], v[22:23], -v[26:27]
	v_add_f64 v[96:97], v[32:33], -v[34:35]
	v_add_f64 v[38:39], v[38:39], v[43:44]
	v_add_f64 v[43:44], v[47:48], v[49:50]
	v_add_f64 v[47:48], v[53:54], v[55:56]
	v_add_f64 v[49:50], v[57:58], v[59:60]
	v_add_f64 v[53:54], v[61:62], v[63:64]
	v_fma_f64 v[57:58], v[76:77], -0.5, v[2:3]
	v_fma_f64 v[2:3], v[78:79], -0.5, v[2:3]
	;; [unrolled: 1-line block ×3, first 2 shown]
	v_add_f64 v[84:85], v[16:17], -v[12:13]
	v_add_f64 v[86:87], v[4:5], -v[8:9]
	v_add_f64 v[6:7], v[6:7], -v[10:11]
	v_fma_f64 v[45:46], v[45:46], -0.5, v[68:69]
	v_fma_f64 v[51:52], v[51:52], -0.5, v[68:69]
	v_add_f64 v[55:56], v[70:71], v[72:73]
	v_add_f64 v[18:19], v[18:19], v[74:75]
	v_fma_f64 v[63:64], v[92:93], -0.5, v[36:37]
	v_add_f64 v[65:66], v[20:21], v[65:66]
	v_fma_f64 v[69:70], v[88:89], s[0:1], v[61:62]
	v_fma_f64 v[61:62], v[88:89], s[6:7], v[61:62]
	;; [unrolled: 1-line block ×7, first 2 shown]
	v_add_f64 v[14:15], v[14:15], v[18:19]
	v_fma_f64 v[18:19], v[86:87], s[0:1], v[45:46]
	v_fma_f64 v[45:46], v[86:87], s[6:7], v[45:46]
	v_fma_f64 v[71:72], v[6:7], s[6:7], v[63:64]
	v_fma_f64 v[63:64], v[6:7], s[0:1], v[63:64]
	v_fma_f64 v[57:58], v[96:97], s[6:7], v[57:58]
	v_add_f64 v[65:66], v[24:25], v[65:66]
	v_fma_f64 v[69:70], v[6:7], s[10:11], v[69:70]
	v_fma_f64 v[6:7], v[6:7], s[4:5], v[61:62]
	v_fma_f64 v[61:62], v[96:97], s[4:5], v[73:74]
	v_fma_f64 v[2:3], v[96:97], s[10:11], v[2:3]
	v_fma_f64 v[73:74], v[94:95], s[4:5], v[75:76]
	;; [unrolled: 6-line block ×3, first 2 shown]
	v_fma_f64 v[63:64], v[88:89], s[4:5], v[63:64]
	v_add_f64 v[20:21], v[20:21], -v[24:25]
	v_fma_f64 v[24:25], v[94:95], s[10:11], v[57:58]
	v_add_f64 v[28:29], v[28:29], -v[30:31]
	v_add_f64 v[57:58], v[30:31], v[65:66]
	v_fma_f64 v[30:31], v[47:48], s[14:15], v[73:74]
	v_fma_f64 v[61:62], v[55:56], s[14:15], v[61:62]
	;; [unrolled: 1-line block ×3, first 2 shown]
	v_add_f64 v[2:3], v[4:5], v[8:9]
	v_add_f64 v[65:66], v[10:11], v[14:15]
	v_fma_f64 v[10:11], v[75:76], -0.5, v[0:1]
	v_fma_f64 v[14:15], v[43:44], s[14:15], v[71:72]
	v_fma_f64 v[67:68], v[49:50], s[14:15], v[67:68]
	;; [unrolled: 1-line block ×3, first 2 shown]
	v_mul_f64 v[51:52], v[30:31], s[20:21]
	v_fma_f64 v[24:25], v[47:48], s[14:15], v[24:25]
	v_fma_f64 v[47:48], v[38:39], s[14:15], v[18:19]
	v_mul_f64 v[18:19], v[30:31], s[4:5]
	v_fma_f64 v[38:39], v[38:39], s[14:15], v[45:46]
	v_fma_f64 v[30:31], v[43:44], s[14:15], v[63:64]
	v_fma_f64 v[43:44], v[2:3], -0.5, v[0:1]
	v_add_f64 v[45:46], v[16:17], -v[4:5]
	v_add_f64 v[63:64], v[12:13], -v[8:9]
	;; [unrolled: 1-line block ×4, first 2 shown]
	v_fma_f64 v[69:70], v[53:54], s[14:15], v[69:70]
	v_fma_f64 v[53:54], v[53:54], s[14:15], v[6:7]
	;; [unrolled: 1-line block ×3, first 2 shown]
	v_add_f64 v[0:1], v[0:1], v[4:5]
	v_add_f64 v[32:33], v[32:33], v[36:37]
	v_fma_f64 v[51:52], v[14:15], s[10:11], v[51:52]
	v_mul_f64 v[4:5], v[55:56], s[14:15]
	v_fma_f64 v[36:37], v[14:15], s[20:21], v[18:19]
	v_mul_f64 v[14:15], v[24:25], s[16:17]
	v_add_f64 v[45:46], v[45:46], v[63:64]
	v_fma_f64 v[63:64], v[20:21], s[0:1], v[43:44]
	v_add_f64 v[59:60], v[80:81], v[82:83]
	v_fma_f64 v[18:19], v[20:21], s[10:11], v[6:7]
	v_fma_f64 v[43:44], v[20:21], s[6:7], v[43:44]
	v_add_f64 v[0:1], v[0:1], v[16:17]
	v_add_f64 v[16:17], v[22:23], v[32:33]
	v_fma_f64 v[10:11], v[28:29], s[0:1], v[10:11]
	v_fma_f64 v[32:33], v[53:54], s[6:7], v[4:5]
	;; [unrolled: 1-line block ×4, first 2 shown]
	v_mul_f64 v[14:15], v[61:62], s[0:1]
	v_fma_f64 v[75:76], v[59:60], s[14:15], v[18:19]
	v_fma_f64 v[18:19], v[28:29], s[4:5], v[43:44]
	v_mul_f64 v[22:23], v[55:56], s[0:1]
	v_fma_f64 v[10:11], v[20:21], s[4:5], v[10:11]
	v_add_f64 v[0:1], v[0:1], v[12:13]
	v_add_f64 v[12:13], v[26:27], v[16:17]
	v_mul_f64 v[20:21], v[24:25], s[4:5]
	v_fma_f64 v[24:25], v[45:46], s[14:15], v[4:5]
	v_fma_f64 v[28:29], v[69:70], s[18:19], v[14:15]
	v_mul_f64 v[71:72], v[61:62], s[18:19]
	v_fma_f64 v[43:44], v[45:46], s[14:15], v[18:19]
	v_fma_f64 v[45:46], v[53:54], s[14:15], v[22:23]
	v_fma_f64 v[53:54], v[59:60], s[14:15], v[10:11]
	v_add_f64 v[59:60], v[8:9], v[0:1]
	v_add_f64 v[61:62], v[34:35], v[12:13]
	v_add_f64 v[2:3], v[47:48], -v[51:52]
	v_add_f64 v[22:23], v[47:48], v[51:52]
	v_mad_u64_u32 v[47:48], s[0:1], s2, v42, 0
	v_add_f64 v[4:5], v[24:25], -v[28:29]
	v_add_f64 v[24:25], v[24:25], v[28:29]
	v_mov_b32_e32 v28, v48
	v_fma_f64 v[55:56], v[30:31], s[16:17], v[20:21]
	v_add_f64 v[10:11], v[49:50], -v[32:33]
	v_add_f64 v[14:15], v[38:39], -v[73:74]
	;; [unrolled: 1-line block ×3, first 2 shown]
	v_add_f64 v[30:31], v[49:50], v[32:33]
	v_add_f64 v[34:35], v[38:39], v[73:74]
	;; [unrolled: 1-line block ×4, first 2 shown]
	v_mad_u64_u32 v[48:49], s[0:1], s3, v42, v[28:29]
	v_add_f64 v[36:37], v[59:60], v[61:62]
	v_add_f64 v[8:9], v[43:44], -v[45:46]
	v_add_f64 v[28:29], v[43:44], v[45:46]
	v_mov_b32_e32 v45, s13
	v_add_co_u32_e32 v49, vcc, s12, v40
	v_add_u32_e32 v46, 0x64, v42
	v_addc_co_u32_e32 v50, vcc, v45, v41, vcc
	v_lshlrev_b64 v[40:41], 4, v[47:48]
	v_mad_u64_u32 v[43:44], s[0:1], s2, v46, 0
	v_add_co_u32_e32 v40, vcc, v49, v40
	v_addc_co_u32_e32 v41, vcc, v50, v41, vcc
	global_store_dwordx4 v[40:41], v[36:39], off
	v_add_u32_e32 v40, 0xc8, v42
	v_add_f64 v[32:33], v[53:54], v[55:56]
	v_mad_u64_u32 v[44:45], s[0:1], s3, v46, v[44:45]
	v_mad_u64_u32 v[38:39], s[0:1], s2, v40, 0
	v_lshlrev_b64 v[36:37], 4, v[43:44]
	v_fma_f64 v[71:72], v[69:70], s[6:7], v[71:72]
	v_mad_u64_u32 v[39:40], s[0:1], s3, v40, v[39:40]
	v_add_co_u32_e32 v36, vcc, v49, v36
	v_add_u32_e32 v43, 0x12c, v42
	v_addc_co_u32_e32 v37, vcc, v50, v37, vcc
	v_mad_u64_u32 v[40:41], s[0:1], s2, v43, 0
	global_store_dwordx4 v[36:37], v[32:35], off
	v_add_f64 v[26:27], v[67:68], v[71:72]
	v_lshlrev_b64 v[32:33], 4, v[38:39]
	v_mov_b32_e32 v34, v41
	v_add_co_u32_e32 v32, vcc, v49, v32
	v_addc_co_u32_e32 v33, vcc, v50, v33, vcc
	v_mad_u64_u32 v[34:35], s[0:1], s3, v43, v[34:35]
	global_store_dwordx4 v[32:33], v[28:31], off
	v_add_u32_e32 v32, 0x190, v42
	v_mad_u64_u32 v[30:31], s[0:1], s2, v32, 0
	v_mov_b32_e32 v41, v34
	v_lshlrev_b64 v[28:29], 4, v[40:41]
	v_mad_u64_u32 v[31:32], s[0:1], s3, v32, v[31:32]
	v_add_co_u32_e32 v28, vcc, v49, v28
	v_add_u32_e32 v34, 0x1f4, v42
	v_addc_co_u32_e32 v29, vcc, v50, v29, vcc
	v_mad_u64_u32 v[32:33], s[0:1], s2, v34, 0
	global_store_dwordx4 v[28:29], v[24:27], off
	v_add_f64 v[18:19], v[57:58], -v[65:66]
	v_lshlrev_b64 v[24:25], 4, v[30:31]
	v_mov_b32_e32 v26, v33
	v_add_co_u32_e32 v24, vcc, v49, v24
	v_addc_co_u32_e32 v25, vcc, v50, v25, vcc
	v_mad_u64_u32 v[26:27], s[0:1], s3, v34, v[26:27]
	global_store_dwordx4 v[24:25], v[20:23], off
	v_add_u32_e32 v24, 0x258, v42
	v_add_f64 v[16:17], v[59:60], -v[61:62]
	v_mad_u64_u32 v[22:23], s[0:1], s2, v24, 0
	v_mov_b32_e32 v33, v26
	v_add_f64 v[12:13], v[53:54], -v[55:56]
	v_lshlrev_b64 v[20:21], 4, v[32:33]
	v_mad_u64_u32 v[23:24], s[0:1], s3, v24, v[23:24]
	v_add_co_u32_e32 v20, vcc, v49, v20
	v_addc_co_u32_e32 v21, vcc, v50, v21, vcc
	v_add_u32_e32 v26, 0x2bc, v42
	v_mad_u64_u32 v[24:25], s[0:1], s2, v26, 0
	global_store_dwordx4 v[20:21], v[16:19], off
	v_add_f64 v[6:7], v[67:68], -v[71:72]
	v_lshlrev_b64 v[16:17], 4, v[22:23]
	v_mov_b32_e32 v18, v25
	v_add_co_u32_e32 v16, vcc, v49, v16
	v_addc_co_u32_e32 v17, vcc, v50, v17, vcc
	global_store_dwordx4 v[16:17], v[12:15], off
	v_add_u32_e32 v16, 0x320, v42
	v_mad_u64_u32 v[18:19], s[0:1], s3, v26, v[18:19]
	v_mad_u64_u32 v[14:15], s[0:1], s2, v16, 0
	v_mov_b32_e32 v25, v18
	v_add_u32_e32 v18, 0x384, v42
	v_mad_u64_u32 v[15:16], s[0:1], s3, v16, v[15:16]
	v_lshlrev_b64 v[12:13], 4, v[24:25]
	v_mad_u64_u32 v[16:17], s[0:1], s2, v18, 0
	v_add_co_u32_e32 v12, vcc, v49, v12
	v_addc_co_u32_e32 v13, vcc, v50, v13, vcc
	global_store_dwordx4 v[12:13], v[8:11], off
	s_nop 0
	v_mov_b32_e32 v10, v17
	v_mad_u64_u32 v[10:11], s[0:1], s3, v18, v[10:11]
	v_lshlrev_b64 v[8:9], 4, v[14:15]
	v_add_co_u32_e32 v8, vcc, v49, v8
	v_addc_co_u32_e32 v9, vcc, v50, v9, vcc
	v_mov_b32_e32 v17, v10
	global_store_dwordx4 v[8:9], v[4:7], off
	s_nop 0
	v_lshlrev_b64 v[4:5], 4, v[16:17]
	v_add_co_u32_e32 v4, vcc, v49, v4
	v_addc_co_u32_e32 v5, vcc, v50, v5, vcc
	global_store_dwordx4 v[4:5], v[0:3], off
.LBB0_13:
	s_endpgm
	.section	.rodata,"a",@progbits
	.p2align	6, 0x0
	.amdhsa_kernel fft_rtc_back_len1000_factors_10_10_10_wgs_100_tpt_100_halfLds_dp_ip_CI_sbrr_dirReg
		.amdhsa_group_segment_fixed_size 0
		.amdhsa_private_segment_fixed_size 0
		.amdhsa_kernarg_size 88
		.amdhsa_user_sgpr_count 6
		.amdhsa_user_sgpr_private_segment_buffer 1
		.amdhsa_user_sgpr_dispatch_ptr 0
		.amdhsa_user_sgpr_queue_ptr 0
		.amdhsa_user_sgpr_kernarg_segment_ptr 1
		.amdhsa_user_sgpr_dispatch_id 0
		.amdhsa_user_sgpr_flat_scratch_init 0
		.amdhsa_user_sgpr_private_segment_size 0
		.amdhsa_uses_dynamic_stack 0
		.amdhsa_system_sgpr_private_segment_wavefront_offset 0
		.amdhsa_system_sgpr_workgroup_id_x 1
		.amdhsa_system_sgpr_workgroup_id_y 0
		.amdhsa_system_sgpr_workgroup_id_z 0
		.amdhsa_system_sgpr_workgroup_info 0
		.amdhsa_system_vgpr_workitem_id 0
		.amdhsa_next_free_vgpr 100
		.amdhsa_next_free_sgpr 24
		.amdhsa_reserve_vcc 1
		.amdhsa_reserve_flat_scratch 0
		.amdhsa_float_round_mode_32 0
		.amdhsa_float_round_mode_16_64 0
		.amdhsa_float_denorm_mode_32 3
		.amdhsa_float_denorm_mode_16_64 3
		.amdhsa_dx10_clamp 1
		.amdhsa_ieee_mode 1
		.amdhsa_fp16_overflow 0
		.amdhsa_exception_fp_ieee_invalid_op 0
		.amdhsa_exception_fp_denorm_src 0
		.amdhsa_exception_fp_ieee_div_zero 0
		.amdhsa_exception_fp_ieee_overflow 0
		.amdhsa_exception_fp_ieee_underflow 0
		.amdhsa_exception_fp_ieee_inexact 0
		.amdhsa_exception_int_div_zero 0
	.end_amdhsa_kernel
	.text
.Lfunc_end0:
	.size	fft_rtc_back_len1000_factors_10_10_10_wgs_100_tpt_100_halfLds_dp_ip_CI_sbrr_dirReg, .Lfunc_end0-fft_rtc_back_len1000_factors_10_10_10_wgs_100_tpt_100_halfLds_dp_ip_CI_sbrr_dirReg
                                        ; -- End function
	.section	.AMDGPU.csdata,"",@progbits
; Kernel info:
; codeLenInByte = 7300
; NumSgprs: 28
; NumVgprs: 100
; ScratchSize: 0
; MemoryBound: 1
; FloatMode: 240
; IeeeMode: 1
; LDSByteSize: 0 bytes/workgroup (compile time only)
; SGPRBlocks: 3
; VGPRBlocks: 24
; NumSGPRsForWavesPerEU: 28
; NumVGPRsForWavesPerEU: 100
; Occupancy: 2
; WaveLimiterHint : 1
; COMPUTE_PGM_RSRC2:SCRATCH_EN: 0
; COMPUTE_PGM_RSRC2:USER_SGPR: 6
; COMPUTE_PGM_RSRC2:TRAP_HANDLER: 0
; COMPUTE_PGM_RSRC2:TGID_X_EN: 1
; COMPUTE_PGM_RSRC2:TGID_Y_EN: 0
; COMPUTE_PGM_RSRC2:TGID_Z_EN: 0
; COMPUTE_PGM_RSRC2:TIDIG_COMP_CNT: 0
	.type	__hip_cuid_82c395131536bf44,@object ; @__hip_cuid_82c395131536bf44
	.section	.bss,"aw",@nobits
	.globl	__hip_cuid_82c395131536bf44
__hip_cuid_82c395131536bf44:
	.byte	0                               ; 0x0
	.size	__hip_cuid_82c395131536bf44, 1

	.ident	"AMD clang version 19.0.0git (https://github.com/RadeonOpenCompute/llvm-project roc-6.4.0 25133 c7fe45cf4b819c5991fe208aaa96edf142730f1d)"
	.section	".note.GNU-stack","",@progbits
	.addrsig
	.addrsig_sym __hip_cuid_82c395131536bf44
	.amdgpu_metadata
---
amdhsa.kernels:
  - .args:
      - .actual_access:  read_only
        .address_space:  global
        .offset:         0
        .size:           8
        .value_kind:     global_buffer
      - .offset:         8
        .size:           8
        .value_kind:     by_value
      - .actual_access:  read_only
        .address_space:  global
        .offset:         16
        .size:           8
        .value_kind:     global_buffer
      - .actual_access:  read_only
        .address_space:  global
        .offset:         24
        .size:           8
        .value_kind:     global_buffer
      - .offset:         32
        .size:           8
        .value_kind:     by_value
      - .actual_access:  read_only
        .address_space:  global
        .offset:         40
        .size:           8
        .value_kind:     global_buffer
      - .actual_access:  read_only
        .address_space:  global
        .offset:         48
        .size:           8
        .value_kind:     global_buffer
      - .offset:         56
        .size:           4
        .value_kind:     by_value
      - .actual_access:  read_only
        .address_space:  global
        .offset:         64
        .size:           8
        .value_kind:     global_buffer
      - .actual_access:  read_only
        .address_space:  global
        .offset:         72
        .size:           8
        .value_kind:     global_buffer
      - .address_space:  global
        .offset:         80
        .size:           8
        .value_kind:     global_buffer
    .group_segment_fixed_size: 0
    .kernarg_segment_align: 8
    .kernarg_segment_size: 88
    .language:       OpenCL C
    .language_version:
      - 2
      - 0
    .max_flat_workgroup_size: 100
    .name:           fft_rtc_back_len1000_factors_10_10_10_wgs_100_tpt_100_halfLds_dp_ip_CI_sbrr_dirReg
    .private_segment_fixed_size: 0
    .sgpr_count:     28
    .sgpr_spill_count: 0
    .symbol:         fft_rtc_back_len1000_factors_10_10_10_wgs_100_tpt_100_halfLds_dp_ip_CI_sbrr_dirReg.kd
    .uniform_work_group_size: 1
    .uses_dynamic_stack: false
    .vgpr_count:     100
    .vgpr_spill_count: 0
    .wavefront_size: 64
amdhsa.target:   amdgcn-amd-amdhsa--gfx906
amdhsa.version:
  - 1
  - 2
...

	.end_amdgpu_metadata
